;; amdgpu-corpus repo=ROCm/rocFFT kind=compiled arch=gfx906 opt=O3
	.text
	.amdgcn_target "amdgcn-amd-amdhsa--gfx906"
	.amdhsa_code_object_version 6
	.protected	fft_rtc_fwd_len693_factors_11_7_9_wgs_99_tpt_99_halfLds_sp_op_CI_CI_unitstride_sbrr_dirReg ; -- Begin function fft_rtc_fwd_len693_factors_11_7_9_wgs_99_tpt_99_halfLds_sp_op_CI_CI_unitstride_sbrr_dirReg
	.globl	fft_rtc_fwd_len693_factors_11_7_9_wgs_99_tpt_99_halfLds_sp_op_CI_CI_unitstride_sbrr_dirReg
	.p2align	8
	.type	fft_rtc_fwd_len693_factors_11_7_9_wgs_99_tpt_99_halfLds_sp_op_CI_CI_unitstride_sbrr_dirReg,@function
fft_rtc_fwd_len693_factors_11_7_9_wgs_99_tpt_99_halfLds_sp_op_CI_CI_unitstride_sbrr_dirReg: ; @fft_rtc_fwd_len693_factors_11_7_9_wgs_99_tpt_99_halfLds_sp_op_CI_CI_unitstride_sbrr_dirReg
; %bb.0:
	s_load_dwordx4 s[8:11], s[4:5], 0x58
	s_load_dwordx4 s[12:15], s[4:5], 0x0
	;; [unrolled: 1-line block ×3, first 2 shown]
	v_mul_u32_u24_e32 v1, 0x296, v0
	v_mov_b32_e32 v3, 0
	v_mov_b32_e32 v7, 0
	s_waitcnt lgkmcnt(0)
	v_cmp_lt_u64_e64 s[0:1], s[14:15], 2
	v_add_u32_sdwa v9, s6, v1 dst_sel:DWORD dst_unused:UNUSED_PAD src0_sel:DWORD src1_sel:WORD_1
	v_mov_b32_e32 v10, v3
	s_and_b64 vcc, exec, s[0:1]
	v_mov_b32_e32 v8, 0
	s_cbranch_vccnz .LBB0_8
; %bb.1:
	s_load_dwordx2 s[0:1], s[4:5], 0x10
	s_add_u32 s2, s18, 8
	s_addc_u32 s3, s19, 0
	s_add_u32 s6, s16, 8
	s_addc_u32 s7, s17, 0
	v_mov_b32_e32 v7, 0
	s_waitcnt lgkmcnt(0)
	s_add_u32 s20, s0, 8
	v_mov_b32_e32 v8, 0
	v_mov_b32_e32 v1, v7
	s_addc_u32 s21, s1, 0
	s_mov_b64 s[22:23], 1
	v_mov_b32_e32 v2, v8
.LBB0_2:                                ; =>This Inner Loop Header: Depth=1
	s_load_dwordx2 s[24:25], s[20:21], 0x0
                                        ; implicit-def: $vgpr5_vgpr6
	s_waitcnt lgkmcnt(0)
	v_or_b32_e32 v4, s25, v10
	v_cmp_ne_u64_e32 vcc, 0, v[3:4]
	s_and_saveexec_b64 s[0:1], vcc
	s_xor_b64 s[26:27], exec, s[0:1]
	s_cbranch_execz .LBB0_4
; %bb.3:                                ;   in Loop: Header=BB0_2 Depth=1
	v_cvt_f32_u32_e32 v4, s24
	v_cvt_f32_u32_e32 v5, s25
	s_sub_u32 s0, 0, s24
	s_subb_u32 s1, 0, s25
	v_mac_f32_e32 v4, 0x4f800000, v5
	v_rcp_f32_e32 v4, v4
	v_mul_f32_e32 v4, 0x5f7ffffc, v4
	v_mul_f32_e32 v5, 0x2f800000, v4
	v_trunc_f32_e32 v5, v5
	v_mac_f32_e32 v4, 0xcf800000, v5
	v_cvt_u32_f32_e32 v5, v5
	v_cvt_u32_f32_e32 v4, v4
	v_mul_lo_u32 v6, s0, v5
	v_mul_hi_u32 v11, s0, v4
	v_mul_lo_u32 v13, s1, v4
	v_mul_lo_u32 v12, s0, v4
	v_add_u32_e32 v6, v11, v6
	v_add_u32_e32 v6, v6, v13
	v_mul_hi_u32 v11, v4, v12
	v_mul_lo_u32 v13, v4, v6
	v_mul_hi_u32 v15, v4, v6
	v_mul_hi_u32 v14, v5, v12
	v_mul_lo_u32 v12, v5, v12
	v_mul_hi_u32 v16, v5, v6
	v_add_co_u32_e32 v11, vcc, v11, v13
	v_addc_co_u32_e32 v13, vcc, 0, v15, vcc
	v_mul_lo_u32 v6, v5, v6
	v_add_co_u32_e32 v11, vcc, v11, v12
	v_addc_co_u32_e32 v11, vcc, v13, v14, vcc
	v_addc_co_u32_e32 v12, vcc, 0, v16, vcc
	v_add_co_u32_e32 v6, vcc, v11, v6
	v_addc_co_u32_e32 v11, vcc, 0, v12, vcc
	v_add_co_u32_e32 v4, vcc, v4, v6
	v_addc_co_u32_e32 v5, vcc, v5, v11, vcc
	v_mul_lo_u32 v6, s0, v5
	v_mul_hi_u32 v11, s0, v4
	v_mul_lo_u32 v12, s1, v4
	v_mul_lo_u32 v13, s0, v4
	v_add_u32_e32 v6, v11, v6
	v_add_u32_e32 v6, v6, v12
	v_mul_lo_u32 v14, v4, v6
	v_mul_hi_u32 v15, v4, v13
	v_mul_hi_u32 v16, v4, v6
	v_mul_hi_u32 v12, v5, v13
	v_mul_lo_u32 v13, v5, v13
	v_mul_hi_u32 v11, v5, v6
	v_add_co_u32_e32 v14, vcc, v15, v14
	v_addc_co_u32_e32 v15, vcc, 0, v16, vcc
	v_mul_lo_u32 v6, v5, v6
	v_add_co_u32_e32 v13, vcc, v14, v13
	v_addc_co_u32_e32 v12, vcc, v15, v12, vcc
	v_addc_co_u32_e32 v11, vcc, 0, v11, vcc
	v_add_co_u32_e32 v6, vcc, v12, v6
	v_addc_co_u32_e32 v11, vcc, 0, v11, vcc
	v_add_co_u32_e32 v6, vcc, v4, v6
	v_addc_co_u32_e32 v11, vcc, v5, v11, vcc
	v_mad_u64_u32 v[4:5], s[0:1], v9, v11, 0
	v_mul_hi_u32 v12, v9, v6
	v_add_co_u32_e32 v13, vcc, v12, v4
	v_addc_co_u32_e32 v14, vcc, 0, v5, vcc
	v_mad_u64_u32 v[4:5], s[0:1], v10, v6, 0
	v_mad_u64_u32 v[11:12], s[0:1], v10, v11, 0
	v_add_co_u32_e32 v4, vcc, v13, v4
	v_addc_co_u32_e32 v4, vcc, v14, v5, vcc
	v_addc_co_u32_e32 v5, vcc, 0, v12, vcc
	v_add_co_u32_e32 v11, vcc, v4, v11
	v_addc_co_u32_e32 v6, vcc, 0, v5, vcc
	v_mul_lo_u32 v12, s25, v11
	v_mul_lo_u32 v13, s24, v6
	v_mad_u64_u32 v[4:5], s[0:1], s24, v11, 0
	v_add3_u32 v5, v5, v13, v12
	v_sub_u32_e32 v12, v10, v5
	v_mov_b32_e32 v13, s25
	v_sub_co_u32_e32 v4, vcc, v9, v4
	v_subb_co_u32_e64 v12, s[0:1], v12, v13, vcc
	v_subrev_co_u32_e64 v13, s[0:1], s24, v4
	v_subbrev_co_u32_e64 v12, s[0:1], 0, v12, s[0:1]
	v_cmp_le_u32_e64 s[0:1], s25, v12
	v_cndmask_b32_e64 v14, 0, -1, s[0:1]
	v_cmp_le_u32_e64 s[0:1], s24, v13
	v_cndmask_b32_e64 v13, 0, -1, s[0:1]
	v_cmp_eq_u32_e64 s[0:1], s25, v12
	v_cndmask_b32_e64 v12, v14, v13, s[0:1]
	v_add_co_u32_e64 v13, s[0:1], 2, v11
	v_addc_co_u32_e64 v14, s[0:1], 0, v6, s[0:1]
	v_add_co_u32_e64 v15, s[0:1], 1, v11
	v_addc_co_u32_e64 v16, s[0:1], 0, v6, s[0:1]
	v_subb_co_u32_e32 v5, vcc, v10, v5, vcc
	v_cmp_ne_u32_e64 s[0:1], 0, v12
	v_cmp_le_u32_e32 vcc, s25, v5
	v_cndmask_b32_e64 v12, v16, v14, s[0:1]
	v_cndmask_b32_e64 v14, 0, -1, vcc
	v_cmp_le_u32_e32 vcc, s24, v4
	v_cndmask_b32_e64 v4, 0, -1, vcc
	v_cmp_eq_u32_e32 vcc, s25, v5
	v_cndmask_b32_e32 v4, v14, v4, vcc
	v_cmp_ne_u32_e32 vcc, 0, v4
	v_cndmask_b32_e64 v4, v15, v13, s[0:1]
	v_cndmask_b32_e32 v6, v6, v12, vcc
	v_cndmask_b32_e32 v5, v11, v4, vcc
.LBB0_4:                                ;   in Loop: Header=BB0_2 Depth=1
	s_andn2_saveexec_b64 s[0:1], s[26:27]
	s_cbranch_execz .LBB0_6
; %bb.5:                                ;   in Loop: Header=BB0_2 Depth=1
	v_cvt_f32_u32_e32 v4, s24
	s_sub_i32 s26, 0, s24
	v_rcp_iflag_f32_e32 v4, v4
	v_mul_f32_e32 v4, 0x4f7ffffe, v4
	v_cvt_u32_f32_e32 v4, v4
	v_mul_lo_u32 v5, s26, v4
	v_mul_hi_u32 v5, v4, v5
	v_add_u32_e32 v4, v4, v5
	v_mul_hi_u32 v4, v9, v4
	v_mul_lo_u32 v5, v4, s24
	v_add_u32_e32 v6, 1, v4
	v_sub_u32_e32 v5, v9, v5
	v_subrev_u32_e32 v11, s24, v5
	v_cmp_le_u32_e32 vcc, s24, v5
	v_cndmask_b32_e32 v5, v5, v11, vcc
	v_cndmask_b32_e32 v4, v4, v6, vcc
	v_add_u32_e32 v6, 1, v4
	v_cmp_le_u32_e32 vcc, s24, v5
	v_cndmask_b32_e32 v5, v4, v6, vcc
	v_mov_b32_e32 v6, v3
.LBB0_6:                                ;   in Loop: Header=BB0_2 Depth=1
	s_or_b64 exec, exec, s[0:1]
	v_mul_lo_u32 v4, v6, s24
	v_mul_lo_u32 v13, v5, s25
	v_mad_u64_u32 v[11:12], s[0:1], v5, s24, 0
	s_load_dwordx2 s[0:1], s[6:7], 0x0
	s_load_dwordx2 s[24:25], s[2:3], 0x0
	v_add3_u32 v4, v12, v13, v4
	v_sub_co_u32_e32 v9, vcc, v9, v11
	v_subb_co_u32_e32 v4, vcc, v10, v4, vcc
	s_waitcnt lgkmcnt(0)
	v_mul_lo_u32 v10, s0, v4
	v_mul_lo_u32 v11, s1, v9
	v_mad_u64_u32 v[7:8], s[0:1], s0, v9, v[7:8]
	s_add_u32 s22, s22, 1
	s_addc_u32 s23, s23, 0
	s_add_u32 s2, s2, 8
	v_mul_lo_u32 v4, s24, v4
	v_mul_lo_u32 v12, s25, v9
	v_mad_u64_u32 v[1:2], s[0:1], s24, v9, v[1:2]
	v_add3_u32 v8, v11, v8, v10
	s_addc_u32 s3, s3, 0
	v_mov_b32_e32 v9, s14
	s_add_u32 s6, s6, 8
	v_mov_b32_e32 v10, s15
	s_addc_u32 s7, s7, 0
	v_cmp_ge_u64_e32 vcc, s[22:23], v[9:10]
	s_add_u32 s20, s20, 8
	v_add3_u32 v2, v12, v2, v4
	s_addc_u32 s21, s21, 0
	s_cbranch_vccnz .LBB0_9
; %bb.7:                                ;   in Loop: Header=BB0_2 Depth=1
	v_mov_b32_e32 v10, v6
	v_mov_b32_e32 v9, v5
	s_branch .LBB0_2
.LBB0_8:
	v_mov_b32_e32 v1, v7
	v_mov_b32_e32 v5, v9
	;; [unrolled: 1-line block ×4, first 2 shown]
.LBB0_9:
	s_mov_b32 s2, 0x295fad5
	s_load_dwordx2 s[0:1], s[4:5], 0x28
	v_mul_hi_u32 v3, v0, s2
	s_lshl_b64 s[14:15], s[14:15], 3
	s_add_u32 s4, s18, s14
	s_addc_u32 s5, s19, s15
	v_mul_u32_u24_e32 v3, 0x63, v3
	s_waitcnt lgkmcnt(0)
	v_cmp_gt_u64_e64 s[0:1], s[0:1], v[5:6]
	v_sub_u32_e32 v3, v0, v3
	v_cmp_gt_u32_e64 s[2:3], 63, v3
	s_and_b64 s[18:19], s[0:1], s[2:3]
	v_mov_b32_e32 v11, 0
	v_mov_b32_e32 v10, 0
                                        ; implicit-def: $vgpr13
                                        ; implicit-def: $vgpr15
                                        ; implicit-def: $vgpr17
                                        ; implicit-def: $vgpr19
                                        ; implicit-def: $vgpr21
                                        ; implicit-def: $vgpr31
                                        ; implicit-def: $vgpr29
                                        ; implicit-def: $vgpr27
                                        ; implicit-def: $vgpr25
                                        ; implicit-def: $vgpr23
	s_and_saveexec_b64 s[6:7], s[18:19]
	s_cbranch_execz .LBB0_11
; %bb.10:
	s_add_u32 s14, s16, s14
	s_addc_u32 s15, s17, s15
	s_load_dwordx2 s[14:15], s[14:15], 0x0
	v_mov_b32_e32 v12, s9
	v_lshlrev_b64 v[7:8], 3, v[7:8]
	v_mov_b32_e32 v4, 0
	s_waitcnt lgkmcnt(0)
	v_mul_lo_u32 v0, s15, v5
	v_mul_lo_u32 v11, s14, v6
	v_mad_u64_u32 v[9:10], s[14:15], s14, v5, 0
	v_add3_u32 v10, v10, v11, v0
	v_lshlrev_b64 v[9:10], 3, v[9:10]
	v_add_co_u32_e32 v0, vcc, s8, v9
	v_addc_co_u32_e32 v9, vcc, v12, v10, vcc
	v_add_co_u32_e32 v0, vcc, v0, v7
	v_addc_co_u32_e32 v9, vcc, v9, v8, vcc
	v_lshlrev_b64 v[7:8], 3, v[3:4]
	v_add_co_u32_e32 v7, vcc, v0, v7
	v_addc_co_u32_e32 v8, vcc, v9, v8, vcc
	global_load_dwordx2 v[10:11], v[7:8], off
	global_load_dwordx2 v[12:13], v[7:8], off offset:504
	global_load_dwordx2 v[14:15], v[7:8], off offset:1008
	;; [unrolled: 1-line block ×7, first 2 shown]
	v_add_co_u32_e32 v32, vcc, 0x1000, v7
	v_addc_co_u32_e32 v33, vcc, 0, v8, vcc
	global_load_dwordx2 v[26:27], v[7:8], off offset:4032
	global_load_dwordx2 v[28:29], v[32:33], off offset:440
	;; [unrolled: 1-line block ×3, first 2 shown]
.LBB0_11:
	s_or_b64 exec, exec, s[6:7]
	s_waitcnt vmcnt(0)
	v_add_f32_e32 v4, v12, v30
	v_mul_f32_e32 v39, 0xbe11bafb, v4
	v_add_f32_e32 v7, v14, v28
	v_sub_f32_e32 v9, v13, v31
	v_mov_b32_e32 v0, v39
	v_mul_f32_e32 v40, 0xbf75a155, v7
	v_fmac_f32_e32 v0, 0xbf7d64f0, v9
	v_sub_f32_e32 v33, v15, v29
	v_mov_b32_e32 v8, v40
	v_add_f32_e32 v0, v10, v0
	v_fmac_f32_e32 v8, 0x3e903f40, v33
	v_mul_f32_e32 v42, 0xbf27a4f4, v4
	v_add_f32_e32 v0, v0, v8
	v_mov_b32_e32 v8, v42
	v_mul_f32_e32 v43, 0xbe11bafb, v7
	v_fmac_f32_e32 v8, 0xbf4178ce, v9
	v_mov_b32_e32 v32, v43
	v_add_f32_e32 v8, v10, v8
	v_fmac_f32_e32 v32, 0x3f7d64f0, v33
	v_add_f32_e32 v8, v8, v32
	v_add_f32_e32 v32, v16, v26
	v_mul_f32_e32 v41, 0x3ed4b147, v32
	v_sub_f32_e32 v35, v17, v27
	v_mov_b32_e32 v34, v41
	v_fmac_f32_e32 v34, 0x3f68dda4, v35
	v_mul_f32_e32 v45, 0x3f575c64, v32
	v_add_f32_e32 v0, v0, v34
	v_mov_b32_e32 v34, v45
	v_fmac_f32_e32 v34, 0xbf0a6770, v35
	v_add_f32_e32 v8, v8, v34
	v_add_f32_e32 v34, v18, v24
	v_mul_f32_e32 v44, 0x3f575c64, v34
	v_sub_f32_e32 v37, v19, v25
	v_mov_b32_e32 v36, v44
	v_fmac_f32_e32 v36, 0xbf0a6770, v37
	v_mul_f32_e32 v47, 0xbf75a155, v34
	v_add_f32_e32 v0, v0, v36
	v_mov_b32_e32 v36, v47
	v_fmac_f32_e32 v36, 0xbe903f40, v37
	v_add_f32_e32 v8, v8, v36
	v_add_f32_e32 v36, v20, v22
	v_mul_f32_e32 v46, 0xbf27a4f4, v36
	v_sub_f32_e32 v38, v21, v23
	v_mov_b32_e32 v48, v46
	v_fmac_f32_e32 v48, 0xbf4178ce, v38
	v_add_f32_e32 v0, v0, v48
	v_mul_f32_e32 v48, 0x3ed4b147, v36
	v_mov_b32_e32 v49, v48
	v_fmac_f32_e32 v49, 0x3f68dda4, v38
	s_mov_b32 s16, 0xbe11bafb
	s_mov_b32 s9, 0xbf27a4f4
	;; [unrolled: 1-line block ×5, first 2 shown]
	v_add_f32_e32 v8, v8, v49
	s_and_saveexec_b64 s[6:7], s[2:3]
	s_cbranch_execz .LBB0_13
; %bb.12:
	v_mul_f32_e32 v55, 0xbe903f40, v9
	v_mov_b32_e32 v56, v55
	v_mul_f32_e32 v57, 0x3f0a6770, v33
	v_fmac_f32_e32 v56, 0xbf75a155, v4
	v_mov_b32_e32 v58, v57
	v_add_f32_e32 v56, v10, v56
	v_fmac_f32_e32 v58, 0x3f575c64, v7
	v_add_f32_e32 v56, v56, v58
	v_mul_f32_e32 v58, 0xbf4178ce, v35
	v_mov_b32_e32 v59, v58
	v_fmac_f32_e32 v59, 0xbf27a4f4, v32
	v_add_f32_e32 v56, v56, v59
	v_mul_f32_e32 v59, 0x3f68dda4, v37
	v_mul_f32_e32 v49, 0xbf7d64f0, v9
	v_fma_f32 v60, v34, s8, -v59
	v_fmac_f32_e32 v59, 0x3ed4b147, v34
	v_mul_f32_e32 v50, 0xbf4178ce, v9
	v_mul_f32_e32 v51, 0x3e903f40, v33
	v_add_f32_e32 v56, v56, v59
	v_mul_f32_e32 v59, 0xbf7d64f0, v38
	v_fma_f32 v55, v4, s14, -v55
	v_sub_f32_e32 v39, v39, v49
	v_mul_f32_e32 v52, 0x3f7d64f0, v33
	v_mul_f32_e32 v53, 0x3f68dda4, v35
	v_fma_f32 v61, v36, s16, -v59
	v_fmac_f32_e32 v59, 0xbe11bafb, v36
	v_add_f32_e32 v55, v10, v55
	v_fma_f32 v57, v7, s15, -v57
	v_sub_f32_e32 v42, v42, v50
	v_add_f32_e32 v39, v10, v39
	v_sub_f32_e32 v40, v40, v51
	v_mul_f32_e32 v54, 0xbf0a6770, v35
	v_add_f32_e32 v56, v56, v59
	v_mul_f32_e32 v59, 0xbf0a6770, v37
	v_add_f32_e32 v55, v55, v57
	v_fma_f32 v58, v32, s9, -v58
	v_add_f32_e32 v42, v10, v42
	v_sub_f32_e32 v43, v43, v52
	v_add_f32_e32 v39, v39, v40
	v_sub_f32_e32 v40, v41, v53
	v_mul_f32_e32 v57, 0xbe903f40, v37
	v_add_f32_e32 v55, v55, v58
	v_mul_f32_e32 v58, 0xbf4178ce, v38
	v_add_f32_e32 v42, v42, v43
	v_sub_f32_e32 v43, v45, v54
	v_add_f32_e32 v39, v39, v40
	v_sub_f32_e32 v40, v44, v59
	v_add_f32_e32 v55, v55, v60
	v_mul_f32_e32 v60, 0x3f68dda4, v38
	v_add_f32_e32 v42, v42, v43
	v_sub_f32_e32 v43, v47, v57
	v_add_f32_e32 v39, v39, v40
	v_sub_f32_e32 v40, v46, v58
	;; [unrolled: 2-line block ×3, first 2 shown]
	v_add_f32_e32 v39, v39, v40
	v_mul_f32_e32 v40, 0xbf68dda4, v9
	v_add_f32_e32 v42, v42, v43
	v_mov_b32_e32 v41, v40
	v_mul_f32_e32 v43, 0xbf4178ce, v33
	v_fmac_f32_e32 v41, 0x3ed4b147, v4
	v_mov_b32_e32 v44, v43
	v_add_f32_e32 v41, v10, v41
	v_fmac_f32_e32 v44, 0xbf27a4f4, v7
	v_fma_f32 v40, v4, s8, -v40
	v_add_f32_e32 v41, v41, v44
	v_mul_f32_e32 v44, 0x3e903f40, v35
	v_add_f32_e32 v40, v10, v40
	v_fma_f32 v43, v7, s9, -v43
	v_add_f32_e32 v40, v40, v43
	v_fma_f32 v43, v32, s14, -v44
	v_mul_f32_e32 v9, 0xbf0a6770, v9
	v_mov_b32_e32 v45, v44
	v_add_f32_e32 v40, v40, v43
	v_mov_b32_e32 v43, v9
	v_mul_f32_e32 v33, 0xbf68dda4, v33
	v_fmac_f32_e32 v45, 0xbf75a155, v32
	v_fmac_f32_e32 v43, 0x3f575c64, v4
	v_mov_b32_e32 v44, v33
	v_fma_f32 v4, v4, s15, -v9
	v_add_f32_e32 v41, v41, v45
	v_mul_f32_e32 v45, 0x3f7d64f0, v37
	v_fmac_f32_e32 v44, 0x3ed4b147, v7
	v_mul_f32_e32 v35, 0xbf7d64f0, v35
	v_add_f32_e32 v4, v10, v4
	v_fma_f32 v7, v7, s8, -v33
	v_fma_f32 v46, v34, s16, -v45
	v_fmac_f32_e32 v45, 0xbe11bafb, v34
	v_mul_f32_e32 v37, 0xbf4178ce, v37
	v_add_f32_e32 v4, v4, v7
	v_fma_f32 v7, v32, s16, -v35
	v_add_f32_e32 v41, v41, v45
	v_mul_f32_e32 v45, 0x3f0a6770, v38
	v_mul_f32_e32 v38, 0xbe903f40, v38
	v_add_f32_e32 v4, v4, v7
	v_fma_f32 v7, v34, s9, -v37
	v_add_f32_e32 v4, v4, v7
	v_fma_f32 v7, v36, s14, -v38
	v_add_f32_e32 v4, v4, v7
	v_add_f32_e32 v7, v10, v12
	;; [unrolled: 1-line block ×7, first 2 shown]
	v_mov_b32_e32 v44, v35
	v_add_f32_e32 v7, v7, v20
	v_fmac_f32_e32 v44, 0xbe11bafb, v32
	v_add_f32_e32 v7, v7, v22
	v_add_f32_e32 v43, v43, v44
	v_mov_b32_e32 v44, v37
	v_add_f32_e32 v7, v24, v7
	v_fmac_f32_e32 v44, 0xbf27a4f4, v34
	v_add_f32_e32 v7, v26, v7
	v_add_f32_e32 v43, v43, v44
	v_mov_b32_e32 v44, v38
	v_add_f32_e32 v7, v28, v7
	v_fma_f32 v47, v36, s15, -v45
	v_fmac_f32_e32 v45, 0x3f575c64, v36
	v_add_f32_e32 v40, v40, v46
	v_fmac_f32_e32 v44, 0xbf75a155, v36
	v_add_f32_e32 v7, v30, v7
	v_mad_u32_u24 v9, v3, 44, 0
	v_add_f32_e32 v55, v55, v61
	v_add_f32_e32 v41, v41, v45
	;; [unrolled: 1-line block ×4, first 2 shown]
	ds_write2_b32 v9, v7, v4 offset1:1
	ds_write2_b32 v9, v40, v39 offset0:2 offset1:3
	ds_write2_b32 v9, v42, v55 offset0:4 offset1:5
	;; [unrolled: 1-line block ×4, first 2 shown]
	ds_write_b32 v9, v43 offset:40
.LBB0_13:
	s_or_b64 exec, exec, s[6:7]
	v_sub_f32_e32 v48, v12, v30
	v_add_f32_e32 v47, v13, v31
	v_mul_f32_e32 v49, 0xbf7d64f0, v48
	v_sub_f32_e32 v44, v14, v28
	v_fma_f32 v4, v47, s16, -v49
	v_mul_f32_e32 v50, 0xbf4178ce, v48
	v_add_f32_e32 v43, v15, v29
	v_mul_f32_e32 v45, 0x3e903f40, v44
	v_add_f32_e32 v4, v11, v4
	v_fma_f32 v7, v47, s9, -v50
	v_fma_f32 v9, v43, s14, -v45
	v_mul_f32_e32 v46, 0x3f7d64f0, v44
	v_sub_f32_e32 v40, v16, v26
	v_add_f32_e32 v7, v11, v7
	v_add_f32_e32 v4, v4, v9
	v_fma_f32 v9, v43, s16, -v46
	v_add_f32_e32 v39, v17, v27
	v_mul_f32_e32 v41, 0x3f68dda4, v40
	v_add_f32_e32 v7, v7, v9
	v_fma_f32 v9, v39, s8, -v41
	v_mul_f32_e32 v42, 0xbf0a6770, v40
	v_sub_f32_e32 v28, v18, v24
	v_add_f32_e32 v4, v4, v9
	v_fma_f32 v9, v39, s15, -v42
	v_add_f32_e32 v26, v19, v25
	v_mul_f32_e32 v30, 0xbf0a6770, v28
	v_add_f32_e32 v7, v7, v9
	v_fma_f32 v9, v26, s15, -v30
	v_mul_f32_e32 v38, 0xbe903f40, v28
	v_sub_f32_e32 v16, v20, v22
	v_add_f32_e32 v4, v4, v9
	v_fma_f32 v9, v26, s14, -v38
	v_add_f32_e32 v14, v21, v23
	v_mul_f32_e32 v18, 0xbf4178ce, v16
	v_lshl_add_u32 v24, v3, 2, 0
	v_add_f32_e32 v10, v7, v9
	v_fma_f32 v7, v14, s9, -v18
	v_add_u32_e32 v9, 0x200, v24
	v_add_u32_e32 v12, 0x400, v24
	v_add_f32_e32 v4, v4, v7
	s_waitcnt lgkmcnt(0)
	s_barrier
	ds_read2_b32 v[32:33], v24 offset1:99
	ds_read2_b32 v[36:37], v9 offset0:70 offset1:169
	ds_read2_b32 v[34:35], v12 offset0:140 offset1:239
	ds_read_b32 v7, v24 offset:2376
	v_mul_f32_e32 v20, 0x3f68dda4, v16
	v_fma_f32 v22, v14, s8, -v20
	v_add_f32_e32 v10, v10, v22
	s_waitcnt lgkmcnt(0)
	s_barrier
	s_and_saveexec_b64 s[6:7], s[2:3]
	s_cbranch_execz .LBB0_15
; %bb.14:
	v_add_f32_e32 v13, v11, v13
	v_add_f32_e32 v13, v13, v15
	;; [unrolled: 1-line block ×7, first 2 shown]
	v_mul_f32_e32 v25, 0xbe903f40, v48
	v_mul_f32_e32 v22, 0xbe11bafb, v47
	v_mul_f32_e32 v51, 0xbf27a4f4, v47
	v_add_f32_e32 v13, v27, v13
	v_mul_f32_e32 v15, 0xbf0a6770, v48
	s_mov_b32 s2, 0x3f575c64
	v_mul_f32_e32 v19, 0xbf68dda4, v48
	s_mov_b32 s3, 0x3ed4b147
	s_mov_b32 s8, 0xbf75a155
	v_mov_b32_e32 v27, v25
	v_fma_f32 v17, v47, s2, -v15
	v_fmac_f32_e32 v15, 0x3f575c64, v47
	v_fma_f32 v21, v47, s3, -v19
	v_fmac_f32_e32 v19, 0x3ed4b147, v47
	v_add_f32_e32 v22, v22, v49
	v_add_f32_e32 v23, v51, v50
	v_fmac_f32_e32 v27, 0xbf75a155, v47
	v_fma_f32 v25, v47, s8, -v25
	v_add_f32_e32 v15, v11, v15
	v_add_f32_e32 v17, v11, v17
	;; [unrolled: 1-line block ×8, first 2 shown]
	v_mul_f32_e32 v25, 0xbf68dda4, v44
	v_add_f32_e32 v13, v29, v13
	v_fma_f32 v29, v43, s3, -v25
	v_fmac_f32_e32 v25, 0x3ed4b147, v43
	v_add_f32_e32 v15, v15, v25
	v_mul_f32_e32 v25, 0xbf4178ce, v44
	v_mul_f32_e32 v52, 0xbf75a155, v43
	v_add_f32_e32 v17, v17, v29
	v_fma_f32 v29, v43, s9, -v25
	v_fmac_f32_e32 v25, 0xbf27a4f4, v43
	v_mul_f32_e32 v53, 0xbe11bafb, v43
	v_add_f32_e32 v19, v19, v25
	v_add_f32_e32 v25, v52, v45
	;; [unrolled: 1-line block ×5, first 2 shown]
	v_mul_f32_e32 v25, 0x3f0a6770, v44
	v_add_f32_e32 v21, v21, v29
	v_mov_b32_e32 v29, v25
	v_fma_f32 v25, v43, s2, -v25
	v_fmac_f32_e32 v29, 0x3f575c64, v43
	v_add_f32_e32 v11, v11, v25
	v_mul_f32_e32 v25, 0xbf7d64f0, v40
	s_mov_b32 s14, 0xbe11bafb
	v_add_f32_e32 v27, v27, v29
	v_fma_f32 v29, v39, s14, -v25
	v_fmac_f32_e32 v25, 0xbe11bafb, v39
	v_add_f32_e32 v15, v15, v25
	v_mul_f32_e32 v25, 0x3e903f40, v40
	v_mul_f32_e32 v54, 0x3ed4b147, v39
	v_add_f32_e32 v17, v17, v29
	v_fma_f32 v29, v39, s8, -v25
	v_fmac_f32_e32 v25, 0xbf75a155, v39
	v_mul_f32_e32 v55, 0x3f575c64, v39
	v_add_f32_e32 v19, v19, v25
	v_add_f32_e32 v25, v54, v41
	;; [unrolled: 1-line block ×5, first 2 shown]
	v_mul_f32_e32 v25, 0xbf4178ce, v40
	v_add_f32_e32 v21, v21, v29
	v_mov_b32_e32 v29, v25
	v_fma_f32 v25, v39, s9, -v25
	v_fmac_f32_e32 v29, 0xbf27a4f4, v39
	v_add_f32_e32 v11, v11, v25
	v_mul_f32_e32 v25, 0xbf4178ce, v28
	v_add_f32_e32 v27, v27, v29
	v_fma_f32 v29, v26, s9, -v25
	v_fmac_f32_e32 v25, 0xbf27a4f4, v26
	v_add_f32_e32 v15, v15, v25
	v_mul_f32_e32 v25, 0x3f7d64f0, v28
	v_mul_f32_e32 v56, 0x3f575c64, v26
	v_add_f32_e32 v17, v17, v29
	v_fma_f32 v29, v26, s14, -v25
	v_fmac_f32_e32 v25, 0xbe11bafb, v26
	v_mul_f32_e32 v57, 0xbf75a155, v26
	v_add_f32_e32 v19, v19, v25
	v_add_f32_e32 v25, v56, v30
	v_add_f32_e32 v22, v22, v25
	v_add_f32_e32 v25, v57, v38
	v_add_f32_e32 v23, v23, v25
	v_mul_f32_e32 v25, 0x3f68dda4, v28
	v_mov_b32_e32 v28, v25
	v_fma_f32 v25, v26, s3, -v25
	v_add_f32_e32 v11, v11, v25
	v_mul_f32_e32 v25, 0xbe903f40, v16
	v_mul_f32_e32 v58, 0xbf27a4f4, v14
	v_fmac_f32_e32 v28, 0x3ed4b147, v26
	v_fma_f32 v26, v14, s8, -v25
	v_fmac_f32_e32 v25, 0xbf75a155, v14
	v_add_f32_e32 v15, v15, v25
	v_mul_f32_e32 v25, 0x3f0a6770, v16
	v_add_f32_e32 v18, v58, v18
	v_mul_f32_e32 v16, 0xbf7d64f0, v16
	v_add_f32_e32 v18, v22, v18
	v_mov_b32_e32 v22, v16
	v_mul_f32_e32 v59, 0x3ed4b147, v14
	v_add_f32_e32 v17, v17, v26
	v_fma_f32 v26, v14, s2, -v25
	v_fmac_f32_e32 v25, 0x3f575c64, v14
	v_fmac_f32_e32 v22, 0xbe11bafb, v14
	v_fma_f32 v14, v14, s14, -v16
	v_add_f32_e32 v13, v31, v13
	v_add_f32_e32 v21, v21, v29
	;; [unrolled: 1-line block ×5, first 2 shown]
	v_mad_u32_u24 v14, v3, 40, v24
	v_add_f32_e32 v19, v19, v25
	v_add_f32_e32 v21, v21, v26
	;; [unrolled: 1-line block ×4, first 2 shown]
	ds_write2_b32 v14, v13, v15 offset1:1
	ds_write2_b32 v14, v19, v18 offset0:2 offset1:3
	ds_write2_b32 v14, v20, v22 offset0:4 offset1:5
	;; [unrolled: 1-line block ×4, first 2 shown]
	ds_write_b32 v14, v17 offset:40
.LBB0_15:
	s_or_b64 exec, exec, s[6:7]
	s_load_dwordx2 s[2:3], s[4:5], 0x0
	s_movk_i32 s4, 0x75
	v_mul_lo_u16_sdwa v11, v3, s4 dst_sel:DWORD dst_unused:UNUSED_PAD src0_sel:BYTE_0 src1_sel:DWORD
	v_sub_u16_sdwa v13, v3, v11 dst_sel:DWORD dst_unused:UNUSED_PAD src0_sel:DWORD src1_sel:BYTE_1
	v_lshrrev_b16_e32 v13, 1, v13
	v_and_b32_e32 v13, 0x7f, v13
	v_add_u16_sdwa v11, v13, v11 dst_sel:DWORD dst_unused:UNUSED_PAD src0_sel:DWORD src1_sel:BYTE_1
	v_lshrrev_b16_e32 v19, 3, v11
	v_mul_lo_u16_e32 v11, 11, v19
	v_sub_u16_e32 v20, v3, v11
	v_mov_b32_e32 v11, 6
	v_mul_u32_u24_sdwa v11, v20, v11 dst_sel:DWORD dst_unused:UNUSED_PAD src0_sel:BYTE_0 src1_sel:DWORD
	v_lshlrev_b32_e32 v11, 3, v11
	s_waitcnt lgkmcnt(0)
	s_barrier
	global_load_dwordx4 v[15:18], v11, s[12:13]
	global_load_dwordx4 v[28:31], v11, s[12:13] offset:16
	global_load_dwordx4 v[38:41], v11, s[12:13] offset:32
	ds_read2_b32 v[13:14], v24 offset1:99
	ds_read2_b32 v[42:43], v9 offset0:70 offset1:169
	ds_read2_b32 v[11:12], v12 offset0:140 offset1:239
	ds_read_b32 v44, v24 offset:2376
	v_mov_b32_e32 v9, 2
	v_mul_u32_u24_e32 v19, 0x134, v19
	v_lshlrev_b32_sdwa v9, v9, v20 dst_sel:DWORD dst_unused:UNUSED_PAD src0_sel:DWORD src1_sel:BYTE_0
	v_add3_u32 v23, 0, v19, v9
	s_mov_b32 s7, 0x3f3bfb3b
	s_mov_b32 s8, 0xbf3bfb3b
	;; [unrolled: 1-line block ×4, first 2 shown]
	s_movk_i32 s4, 0x4d
	v_cmp_gt_u32_e32 vcc, s4, v3
	s_waitcnt vmcnt(0) lgkmcnt(0)
	s_barrier
	v_mul_f32_e32 v25, v14, v16
	v_mul_f32_e32 v9, v33, v16
	;; [unrolled: 1-line block ×11, first 2 shown]
	v_fma_f32 v25, v33, v15, -v25
	v_fmac_f32_e32 v9, v14, v15
	v_fma_f32 v14, v36, v17, -v16
	v_fma_f32 v26, v37, v28, -v18
	v_fmac_f32_e32 v20, v43, v28
	v_fma_f32 v28, v34, v30, -v29
	v_fmac_f32_e32 v21, v11, v30
	v_fma_f32 v29, v35, v38, -v31
	v_fma_f32 v30, v7, v40, -v39
	v_mul_f32_e32 v27, v7, v41
	v_fmac_f32_e32 v19, v42, v17
	v_fmac_f32_e32 v22, v12, v38
	v_add_f32_e32 v7, v25, v30
	v_add_f32_e32 v12, v14, v29
	v_fmac_f32_e32 v27, v44, v40
	v_sub_f32_e32 v15, v19, v22
	v_add_f32_e32 v16, v26, v28
	v_sub_f32_e32 v17, v21, v20
	v_add_f32_e32 v18, v12, v7
	v_sub_f32_e32 v11, v9, v27
	v_sub_f32_e32 v31, v12, v7
	;; [unrolled: 1-line block ×4, first 2 shown]
	v_add_f32_e32 v33, v17, v15
	v_add_f32_e32 v16, v16, v18
	v_sub_f32_e32 v34, v17, v15
	v_sub_f32_e32 v17, v11, v17
	;; [unrolled: 1-line block ×3, first 2 shown]
	v_add_f32_e32 v18, v33, v11
	v_mul_f32_e32 v7, 0x3f4a47b2, v7
	v_mul_f32_e32 v33, 0x3d64c772, v12
	v_add_f32_e32 v11, v32, v16
	v_mul_f32_e32 v34, 0xbf08b237, v34
	v_mul_f32_e32 v35, 0x3f5ff5aa, v15
	v_fma_f32 v32, v31, s7, -v33
	v_fma_f32 v31, v31, s8, -v7
	v_fmac_f32_e32 v7, 0x3d64c772, v12
	v_mov_b32_e32 v12, v11
	v_fma_f32 v33, v15, s6, -v34
	v_fmac_f32_e32 v34, 0x3eae86e6, v17
	v_fma_f32 v35, v17, s9, -v35
	v_fmac_f32_e32 v12, 0xbf955555, v16
	v_fmac_f32_e32 v34, 0x3ee1c552, v18
	;; [unrolled: 1-line block ×4, first 2 shown]
	v_add_f32_e32 v7, v7, v12
	v_add_f32_e32 v17, v32, v12
	;; [unrolled: 1-line block ×5, first 2 shown]
	v_sub_f32_e32 v16, v17, v33
	v_add_f32_e32 v17, v33, v17
	v_sub_f32_e32 v18, v18, v35
	v_sub_f32_e32 v7, v7, v34
	ds_write2_b32 v23, v11, v12 offset1:11
	ds_write2_b32 v23, v15, v16 offset0:22 offset1:33
	ds_write2_b32 v23, v17, v18 offset0:44 offset1:55
	ds_write_b32 v23, v7 offset:264
	s_waitcnt lgkmcnt(0)
	s_barrier
	s_and_saveexec_b64 s[4:5], vcc
	s_cbranch_execz .LBB0_17
; %bb.16:
	v_add_u32_e32 v0, 0x400, v24
	ds_read2_b32 v[11:12], v24 offset1:77
	ds_read2_b32 v[15:16], v24 offset0:154 offset1:231
	ds_read2_b32 v[17:18], v0 offset0:52 offset1:129
	v_add_u32_e32 v0, 0x600, v24
	ds_read2_b32 v[7:8], v0 offset0:78 offset1:155
	ds_read_b32 v0, v24 offset:2464
.LBB0_17:
	s_or_b64 exec, exec, s[4:5]
	v_add_f32_e32 v9, v9, v27
	v_add_f32_e32 v19, v19, v22
	;; [unrolled: 1-line block ×4, first 2 shown]
	v_sub_f32_e32 v25, v25, v30
	v_sub_f32_e32 v14, v14, v29
	;; [unrolled: 1-line block ×6, first 2 shown]
	v_add_f32_e32 v20, v20, v22
	v_add_f32_e32 v27, v21, v14
	v_sub_f32_e32 v28, v21, v14
	v_sub_f32_e32 v14, v14, v25
	v_add_f32_e32 v13, v13, v20
	v_sub_f32_e32 v21, v25, v21
	v_add_f32_e32 v22, v27, v25
	v_mul_f32_e32 v9, 0x3f4a47b2, v9
	v_mul_f32_e32 v25, 0x3d64c772, v19
	;; [unrolled: 1-line block ×4, first 2 shown]
	v_mov_b32_e32 v29, v13
	v_fmac_f32_e32 v29, 0xbf955555, v20
	v_fma_f32 v20, v26, s7, -v25
	v_fma_f32 v25, v26, s8, -v9
	v_fmac_f32_e32 v9, 0x3d64c772, v19
	v_fma_f32 v26, v14, s6, -v27
	v_fmac_f32_e32 v27, 0x3eae86e6, v21
	v_fma_f32 v28, v21, s9, -v28
	v_add_f32_e32 v9, v9, v29
	v_add_f32_e32 v21, v20, v29
	;; [unrolled: 1-line block ×3, first 2 shown]
	v_fmac_f32_e32 v27, 0x3ee1c552, v22
	v_fmac_f32_e32 v26, 0x3ee1c552, v22
	;; [unrolled: 1-line block ×3, first 2 shown]
	v_sub_f32_e32 v14, v9, v27
	v_sub_f32_e32 v19, v25, v28
	v_add_f32_e32 v20, v26, v21
	v_sub_f32_e32 v21, v21, v26
	v_add_f32_e32 v22, v28, v25
	v_add_f32_e32 v9, v27, v9
	s_waitcnt lgkmcnt(0)
	s_barrier
	ds_write2_b32 v23, v13, v14 offset1:11
	ds_write2_b32 v23, v19, v20 offset0:22 offset1:33
	ds_write2_b32 v23, v21, v22 offset0:44 offset1:55
	ds_write_b32 v23, v9 offset:264
	s_waitcnt lgkmcnt(0)
	s_barrier
	s_and_saveexec_b64 s[4:5], vcc
	s_cbranch_execnz .LBB0_20
; %bb.18:
	s_or_b64 exec, exec, s[4:5]
	s_and_b64 s[0:1], s[0:1], vcc
	s_and_saveexec_b64 s[4:5], s[0:1]
	s_cbranch_execnz .LBB0_21
.LBB0_19:
	s_endpgm
.LBB0_20:
	v_add_u32_e32 v4, 0x400, v24
	ds_read2_b32 v[13:14], v24 offset1:77
	ds_read2_b32 v[19:20], v24 offset0:154 offset1:231
	ds_read2_b32 v[21:22], v4 offset0:52 offset1:129
	v_add_u32_e32 v4, 0x600, v24
	ds_read2_b32 v[9:10], v4 offset0:78 offset1:155
	ds_read_b32 v4, v24 offset:2464
	s_or_b64 exec, exec, s[4:5]
	s_and_b64 s[0:1], s[0:1], vcc
	s_and_saveexec_b64 s[4:5], s[0:1]
	s_cbranch_execz .LBB0_19
.LBB0_21:
	v_lshlrev_b32_e32 v38, 3, v3
	v_mov_b32_e32 v39, 0
	v_lshlrev_b64 v[23:24], 3, v[38:39]
	v_mov_b32_e32 v25, s13
	v_add_co_u32_e32 v40, vcc, s12, v23
	v_addc_co_u32_e32 v41, vcc, v25, v24, vcc
	global_load_dwordx4 v[23:26], v[40:41], off offset:528
	global_load_dwordx4 v[27:30], v[40:41], off offset:576
	;; [unrolled: 1-line block ×4, first 2 shown]
	v_mul_lo_u32 v40, s3, v5
	v_mul_lo_u32 v41, s2, v6
	v_mad_u64_u32 v[5:6], s[0:1], s2, v5, 0
	s_waitcnt lgkmcnt(4)
	v_mov_b32_e32 v42, v13
	s_mov_b32 s0, 0xbf248dbb
	v_add3_u32 v6, v6, v41, v40
	v_mov_b32_e32 v43, v11
	v_lshlrev_b64 v[5:6], 3, v[5:6]
	v_add_co_u32_e32 v5, vcc, s10, v5
	s_waitcnt vmcnt(3) lgkmcnt(3)
	v_mul_f32_e32 v46, v19, v26
	s_waitcnt vmcnt(2) lgkmcnt(1)
	v_mul_f32_e32 v47, v10, v28
	s_waitcnt vmcnt(1)
	v_mul_f32_e32 v48, v21, v34
	s_waitcnt vmcnt(0)
	v_mul_f32_e32 v49, v22, v36
	v_mul_f32_e32 v28, v8, v28
	;; [unrolled: 1-line block ×3, first 2 shown]
	s_waitcnt lgkmcnt(0)
	v_mul_f32_e32 v41, v4, v30
	v_mul_f32_e32 v44, v20, v32
	;; [unrolled: 1-line block ×6, first 2 shown]
	v_fma_f32 v17, v17, v33, -v48
	v_fma_f32 v18, v18, v35, -v49
	v_fmac_f32_e32 v28, v10, v27
	v_fmac_f32_e32 v26, v19, v25
	v_mul_f32_e32 v40, v14, v24
	v_mul_f32_e32 v38, v7, v38
	;; [unrolled: 1-line block ×3, first 2 shown]
	v_fma_f32 v0, v0, v29, -v41
	v_fma_f32 v16, v16, v31, -v44
	;; [unrolled: 1-line block ×5, first 2 shown]
	v_fmac_f32_e32 v36, v22, v35
	v_fmac_f32_e32 v34, v21, v33
	;; [unrolled: 1-line block ×3, first 2 shown]
	v_sub_f32_e32 v29, v17, v18
	v_add_f32_e32 v33, v26, v28
	v_mul_f32_e32 v24, v12, v24
	v_fma_f32 v12, v12, v23, -v40
	v_fmac_f32_e32 v38, v9, v37
	v_fmac_f32_e32 v32, v20, v31
	v_sub_f32_e32 v25, v16, v7
	v_sub_f32_e32 v27, v15, v8
	v_add_f32_e32 v31, v34, v36
	v_add_f32_e32 v40, v16, v7
	v_mul_f32_e32 v7, 0x3f7c1c5c, v29
	v_fmac_f32_e32 v42, 0x3f441b7d, v33
	v_fmac_f32_e32 v24, v14, v23
	v_add_f32_e32 v35, v32, v38
	v_fma_f32 v9, v27, s0, -v7
	v_fmac_f32_e32 v42, 0x3e31d0d4, v31
	v_sub_f32_e32 v4, v12, v0
	v_add_f32_e32 v37, v24, v30
	v_sub_f32_e32 v26, v26, v28
	v_sub_f32_e32 v28, v34, v36
	v_fmac_f32_e32 v9, 0x3f5db3d7, v25
	v_fmac_f32_e32 v42, -0.5, v35
	v_sub_f32_e32 v24, v24, v30
	v_sub_f32_e32 v30, v32, v38
	v_add_f32_e32 v38, v15, v8
	v_add_f32_e32 v0, v12, v0
	v_mul_f32_e32 v8, 0x3f7c1c5c, v28
	v_fmac_f32_e32 v9, 0x3eaf1d44, v4
	v_fmac_f32_e32 v42, 0xbf708fb2, v37
	v_fma_f32 v14, v26, s0, -v8
	v_sub_f32_e32 v8, v42, v9
	v_add_f32_e32 v20, v0, v38
	v_add_f32_e32 v12, v37, v33
	v_fma_f32 v15, 2.0, v9, v8
	v_add_f32_e32 v9, v40, v20
	v_add_f32_e32 v32, v17, v18
	;; [unrolled: 1-line block ×7, first 2 shown]
	v_sub_f32_e32 v16, v16, v27
	v_fmac_f32_e32 v17, -0.5, v12
	v_add_f32_e32 v9, v18, v9
	v_mul_f32_e32 v18, 0x3f5db3d7, v16
	v_fmac_f32_e32 v17, 0xbf5db3d7, v16
	v_add_f32_e32 v12, v24, v28
	v_add_f32_e32 v16, v11, v40
	;; [unrolled: 1-line block ×3, first 2 shown]
	v_sub_f32_e32 v12, v12, v26
	v_fmac_f32_e32 v16, -0.5, v20
	v_mov_b32_e32 v20, v13
	v_fma_f32 v19, 2.0, v18, v17
	v_mul_f32_e32 v18, 0x3f5db3d7, v12
	v_fmac_f32_e32 v16, 0x3f5db3d7, v12
	v_mul_f32_e32 v12, 0xbf248dbb, v29
	v_fmac_f32_e32 v20, 0x3f441b7d, v31
	v_fmac_f32_e32 v12, 0x3f7c1c5c, v4
	;; [unrolled: 1-line block ×4, first 2 shown]
	v_fmac_f32_e32 v20, -0.5, v35
	v_fmac_f32_e32 v43, 0x3f441b7d, v38
	v_fmac_f32_e32 v12, 0x3eaf1d44, v27
	;; [unrolled: 1-line block ×3, first 2 shown]
	v_mul_f32_e32 v27, 0x3f7c1c5c, v27
	v_fmac_f32_e32 v43, 0x3e31d0d4, v32
	v_add_f32_e32 v9, v11, v9
	v_sub_f32_e32 v21, v20, v12
	v_mov_b32_e32 v20, v11
	v_fmac_f32_e32 v27, 0x3f248dbb, v4
	v_mul_f32_e32 v4, 0x3f7c1c5c, v26
	v_fmac_f32_e32 v11, 0x3f441b7d, v0
	v_fmac_f32_e32 v43, -0.5, v40
	v_fmac_f32_e32 v20, 0x3f441b7d, v32
	v_fmac_f32_e32 v4, 0x3f248dbb, v24
	v_fmac_f32_e32 v11, 0x3e31d0d4, v38
	v_fmac_f32_e32 v43, 0xbf708fb2, v0
	v_fmac_f32_e32 v20, 0x3e31d0d4, v0
	v_fmac_f32_e32 v4, 0x3f5db3d7, v30
	v_fmac_f32_e32 v11, -0.5, v40
	v_mov_b32_e32 v0, s11
	v_fmac_f32_e32 v4, 0x3eaf1d44, v28
	v_fmac_f32_e32 v11, 0xbf708fb2, v32
	v_addc_co_u32_e32 v6, vcc, v0, v6, vcc
	v_lshlrev_b64 v[0:1], 3, v[1:2]
	v_fmac_f32_e32 v14, 0x3f5db3d7, v30
	v_add_f32_e32 v7, v34, v7
	v_fma_f32 v23, 2.0, v12, v21
	v_mul_f32_e32 v12, 0xbf248dbb, v28
	v_add_f32_e32 v11, v4, v11
	v_fmac_f32_e32 v14, 0x3eaf1d44, v24
	v_add_f32_e32 v10, v36, v7
	v_fmac_f32_e32 v12, 0x3f7c1c5c, v24
	v_fma_f32 v24, -2.0, v4, v11
	v_mov_b32_e32 v4, v39
	v_add_co_u32_e32 v2, vcc, v5, v0
	v_add_f32_e32 v10, v13, v10
	v_fmac_f32_e32 v13, 0x3f441b7d, v37
	v_addc_co_u32_e32 v5, vcc, v6, v1, vcc
	v_lshlrev_b64 v[0:1], 3, v[3:4]
	v_fmac_f32_e32 v12, 0xbf5db3d7, v30
	v_fmac_f32_e32 v20, -0.5, v40
	v_fmac_f32_e32 v13, 0x3e31d0d4, v33
	v_fmac_f32_e32 v12, 0x3eaf1d44, v26
	;; [unrolled: 1-line block ×4, first 2 shown]
	v_fmac_f32_e32 v13, -0.5, v35
	v_add_co_u32_e32 v0, vcc, v2, v0
	v_add_f32_e32 v7, v14, v43
	v_add_f32_e32 v20, v12, v20
	v_fmac_f32_e32 v27, 0x3eaf1d44, v29
	v_fmac_f32_e32 v13, 0xbf708fb2, v31
	v_addc_co_u32_e32 v1, vcc, v5, v1, vcc
	v_fma_f32 v14, -2.0, v14, v7
	v_fma_f32 v18, -2.0, v18, v16
	;; [unrolled: 1-line block ×3, first 2 shown]
	v_sub_f32_e32 v12, v13, v27
	global_store_dwordx2 v[0:1], v[9:10], off
	global_store_dwordx2 v[0:1], v[11:12], off offset:616
	global_store_dwordx2 v[0:1], v[20:21], off offset:1232
	;; [unrolled: 1-line block ×6, first 2 shown]
	v_add_co_u32_e32 v0, vcc, 0x1000, v0
	v_addc_co_u32_e32 v1, vcc, 0, v1, vcc
	v_fma_f32 v25, 2.0, v27, v12
	global_store_dwordx2 v[0:1], v[22:23], off offset:216
	global_store_dwordx2 v[0:1], v[24:25], off offset:832
	s_endpgm
	.section	.rodata,"a",@progbits
	.p2align	6, 0x0
	.amdhsa_kernel fft_rtc_fwd_len693_factors_11_7_9_wgs_99_tpt_99_halfLds_sp_op_CI_CI_unitstride_sbrr_dirReg
		.amdhsa_group_segment_fixed_size 0
		.amdhsa_private_segment_fixed_size 0
		.amdhsa_kernarg_size 104
		.amdhsa_user_sgpr_count 6
		.amdhsa_user_sgpr_private_segment_buffer 1
		.amdhsa_user_sgpr_dispatch_ptr 0
		.amdhsa_user_sgpr_queue_ptr 0
		.amdhsa_user_sgpr_kernarg_segment_ptr 1
		.amdhsa_user_sgpr_dispatch_id 0
		.amdhsa_user_sgpr_flat_scratch_init 0
		.amdhsa_user_sgpr_private_segment_size 0
		.amdhsa_uses_dynamic_stack 0
		.amdhsa_system_sgpr_private_segment_wavefront_offset 0
		.amdhsa_system_sgpr_workgroup_id_x 1
		.amdhsa_system_sgpr_workgroup_id_y 0
		.amdhsa_system_sgpr_workgroup_id_z 0
		.amdhsa_system_sgpr_workgroup_info 0
		.amdhsa_system_vgpr_workitem_id 0
		.amdhsa_next_free_vgpr 62
		.amdhsa_next_free_sgpr 28
		.amdhsa_reserve_vcc 1
		.amdhsa_reserve_flat_scratch 0
		.amdhsa_float_round_mode_32 0
		.amdhsa_float_round_mode_16_64 0
		.amdhsa_float_denorm_mode_32 3
		.amdhsa_float_denorm_mode_16_64 3
		.amdhsa_dx10_clamp 1
		.amdhsa_ieee_mode 1
		.amdhsa_fp16_overflow 0
		.amdhsa_exception_fp_ieee_invalid_op 0
		.amdhsa_exception_fp_denorm_src 0
		.amdhsa_exception_fp_ieee_div_zero 0
		.amdhsa_exception_fp_ieee_overflow 0
		.amdhsa_exception_fp_ieee_underflow 0
		.amdhsa_exception_fp_ieee_inexact 0
		.amdhsa_exception_int_div_zero 0
	.end_amdhsa_kernel
	.text
.Lfunc_end0:
	.size	fft_rtc_fwd_len693_factors_11_7_9_wgs_99_tpt_99_halfLds_sp_op_CI_CI_unitstride_sbrr_dirReg, .Lfunc_end0-fft_rtc_fwd_len693_factors_11_7_9_wgs_99_tpt_99_halfLds_sp_op_CI_CI_unitstride_sbrr_dirReg
                                        ; -- End function
	.section	.AMDGPU.csdata,"",@progbits
; Kernel info:
; codeLenInByte = 5712
; NumSgprs: 32
; NumVgprs: 62
; ScratchSize: 0
; MemoryBound: 0
; FloatMode: 240
; IeeeMode: 1
; LDSByteSize: 0 bytes/workgroup (compile time only)
; SGPRBlocks: 3
; VGPRBlocks: 15
; NumSGPRsForWavesPerEU: 32
; NumVGPRsForWavesPerEU: 62
; Occupancy: 4
; WaveLimiterHint : 1
; COMPUTE_PGM_RSRC2:SCRATCH_EN: 0
; COMPUTE_PGM_RSRC2:USER_SGPR: 6
; COMPUTE_PGM_RSRC2:TRAP_HANDLER: 0
; COMPUTE_PGM_RSRC2:TGID_X_EN: 1
; COMPUTE_PGM_RSRC2:TGID_Y_EN: 0
; COMPUTE_PGM_RSRC2:TGID_Z_EN: 0
; COMPUTE_PGM_RSRC2:TIDIG_COMP_CNT: 0
	.type	__hip_cuid_cd1265f159fa4c48,@object ; @__hip_cuid_cd1265f159fa4c48
	.section	.bss,"aw",@nobits
	.globl	__hip_cuid_cd1265f159fa4c48
__hip_cuid_cd1265f159fa4c48:
	.byte	0                               ; 0x0
	.size	__hip_cuid_cd1265f159fa4c48, 1

	.ident	"AMD clang version 19.0.0git (https://github.com/RadeonOpenCompute/llvm-project roc-6.4.0 25133 c7fe45cf4b819c5991fe208aaa96edf142730f1d)"
	.section	".note.GNU-stack","",@progbits
	.addrsig
	.addrsig_sym __hip_cuid_cd1265f159fa4c48
	.amdgpu_metadata
---
amdhsa.kernels:
  - .args:
      - .actual_access:  read_only
        .address_space:  global
        .offset:         0
        .size:           8
        .value_kind:     global_buffer
      - .offset:         8
        .size:           8
        .value_kind:     by_value
      - .actual_access:  read_only
        .address_space:  global
        .offset:         16
        .size:           8
        .value_kind:     global_buffer
      - .actual_access:  read_only
        .address_space:  global
        .offset:         24
        .size:           8
        .value_kind:     global_buffer
      - .actual_access:  read_only
        .address_space:  global
        .offset:         32
        .size:           8
        .value_kind:     global_buffer
      - .offset:         40
        .size:           8
        .value_kind:     by_value
      - .actual_access:  read_only
        .address_space:  global
        .offset:         48
        .size:           8
        .value_kind:     global_buffer
      - .actual_access:  read_only
        .address_space:  global
        .offset:         56
        .size:           8
        .value_kind:     global_buffer
      - .offset:         64
        .size:           4
        .value_kind:     by_value
      - .actual_access:  read_only
        .address_space:  global
        .offset:         72
        .size:           8
        .value_kind:     global_buffer
      - .actual_access:  read_only
        .address_space:  global
        .offset:         80
        .size:           8
        .value_kind:     global_buffer
      - .actual_access:  read_only
        .address_space:  global
        .offset:         88
        .size:           8
        .value_kind:     global_buffer
      - .actual_access:  write_only
        .address_space:  global
        .offset:         96
        .size:           8
        .value_kind:     global_buffer
    .group_segment_fixed_size: 0
    .kernarg_segment_align: 8
    .kernarg_segment_size: 104
    .language:       OpenCL C
    .language_version:
      - 2
      - 0
    .max_flat_workgroup_size: 99
    .name:           fft_rtc_fwd_len693_factors_11_7_9_wgs_99_tpt_99_halfLds_sp_op_CI_CI_unitstride_sbrr_dirReg
    .private_segment_fixed_size: 0
    .sgpr_count:     32
    .sgpr_spill_count: 0
    .symbol:         fft_rtc_fwd_len693_factors_11_7_9_wgs_99_tpt_99_halfLds_sp_op_CI_CI_unitstride_sbrr_dirReg.kd
    .uniform_work_group_size: 1
    .uses_dynamic_stack: false
    .vgpr_count:     62
    .vgpr_spill_count: 0
    .wavefront_size: 64
amdhsa.target:   amdgcn-amd-amdhsa--gfx906
amdhsa.version:
  - 1
  - 2
...

	.end_amdgpu_metadata
